;; amdgpu-corpus repo=ROCm/rocFFT kind=compiled arch=gfx1201 opt=O3
	.text
	.amdgcn_target "amdgcn-amd-amdhsa--gfx1201"
	.amdhsa_code_object_version 6
	.protected	fft_rtc_fwd_len768_factors_16_3_16_wgs_48_tpt_48_halfLds_half_op_CI_CI_unitstride_sbrr_R2C_dirReg ; -- Begin function fft_rtc_fwd_len768_factors_16_3_16_wgs_48_tpt_48_halfLds_half_op_CI_CI_unitstride_sbrr_R2C_dirReg
	.globl	fft_rtc_fwd_len768_factors_16_3_16_wgs_48_tpt_48_halfLds_half_op_CI_CI_unitstride_sbrr_R2C_dirReg
	.p2align	8
	.type	fft_rtc_fwd_len768_factors_16_3_16_wgs_48_tpt_48_halfLds_half_op_CI_CI_unitstride_sbrr_R2C_dirReg,@function
fft_rtc_fwd_len768_factors_16_3_16_wgs_48_tpt_48_halfLds_half_op_CI_CI_unitstride_sbrr_R2C_dirReg: ; @fft_rtc_fwd_len768_factors_16_3_16_wgs_48_tpt_48_halfLds_half_op_CI_CI_unitstride_sbrr_R2C_dirReg
; %bb.0:
	s_clause 0x2
	s_load_b128 s[8:11], s[0:1], 0x0
	s_load_b128 s[4:7], s[0:1], 0x58
	;; [unrolled: 1-line block ×3, first 2 shown]
	v_mul_u32_u24_e32 v1, 0x556, v0
	v_mov_b32_e32 v3, 0
	v_mov_b32_e32 v13, 0
	;; [unrolled: 1-line block ×3, first 2 shown]
	s_delay_alu instid0(VALU_DEP_4) | instskip(NEXT) | instid1(VALU_DEP_1)
	v_lshrrev_b32_e32 v1, 16, v1
	v_dual_mov_b32 v6, v3 :: v_dual_add_nc_u32 v5, ttmp9, v1
	s_wait_kmcnt 0x0
	v_cmp_lt_u64_e64 s2, s[10:11], 2
	s_delay_alu instid0(VALU_DEP_1)
	s_and_b32 vcc_lo, exec_lo, s2
	s_cbranch_vccnz .LBB0_8
; %bb.1:
	s_load_b64 s[2:3], s[0:1], 0x10
	v_mov_b32_e32 v13, 0
	v_mov_b32_e32 v14, 0
	s_delay_alu instid0(VALU_DEP_2)
	v_mov_b32_e32 v1, v13
	s_add_nc_u64 s[16:17], s[14:15], 8
	s_add_nc_u64 s[18:19], s[12:13], 8
	s_mov_b64 s[20:21], 1
	v_mov_b32_e32 v2, v14
	s_wait_kmcnt 0x0
	s_add_nc_u64 s[22:23], s[2:3], 8
	s_mov_b32 s3, 0
.LBB0_2:                                ; =>This Inner Loop Header: Depth=1
	s_load_b64 s[24:25], s[22:23], 0x0
                                        ; implicit-def: $vgpr7_vgpr8
	s_mov_b32 s2, exec_lo
	s_wait_kmcnt 0x0
	v_or_b32_e32 v4, s25, v6
	s_delay_alu instid0(VALU_DEP_1)
	v_cmpx_ne_u64_e32 0, v[3:4]
	s_wait_alu 0xfffe
	s_xor_b32 s26, exec_lo, s2
	s_cbranch_execz .LBB0_4
; %bb.3:                                ;   in Loop: Header=BB0_2 Depth=1
	s_cvt_f32_u32 s2, s24
	s_cvt_f32_u32 s27, s25
	s_sub_nc_u64 s[30:31], 0, s[24:25]
	s_wait_alu 0xfffe
	s_delay_alu instid0(SALU_CYCLE_1) | instskip(SKIP_1) | instid1(SALU_CYCLE_2)
	s_fmamk_f32 s2, s27, 0x4f800000, s2
	s_wait_alu 0xfffe
	v_s_rcp_f32 s2, s2
	s_delay_alu instid0(TRANS32_DEP_1) | instskip(SKIP_1) | instid1(SALU_CYCLE_2)
	s_mul_f32 s2, s2, 0x5f7ffffc
	s_wait_alu 0xfffe
	s_mul_f32 s27, s2, 0x2f800000
	s_wait_alu 0xfffe
	s_delay_alu instid0(SALU_CYCLE_2) | instskip(SKIP_1) | instid1(SALU_CYCLE_2)
	s_trunc_f32 s27, s27
	s_wait_alu 0xfffe
	s_fmamk_f32 s2, s27, 0xcf800000, s2
	s_cvt_u32_f32 s29, s27
	s_wait_alu 0xfffe
	s_delay_alu instid0(SALU_CYCLE_1) | instskip(SKIP_1) | instid1(SALU_CYCLE_2)
	s_cvt_u32_f32 s28, s2
	s_wait_alu 0xfffe
	s_mul_u64 s[34:35], s[30:31], s[28:29]
	s_wait_alu 0xfffe
	s_mul_hi_u32 s37, s28, s35
	s_mul_i32 s36, s28, s35
	s_mul_hi_u32 s2, s28, s34
	s_mul_i32 s33, s29, s34
	s_wait_alu 0xfffe
	s_add_nc_u64 s[36:37], s[2:3], s[36:37]
	s_mul_hi_u32 s27, s29, s34
	s_mul_hi_u32 s38, s29, s35
	s_add_co_u32 s2, s36, s33
	s_wait_alu 0xfffe
	s_add_co_ci_u32 s2, s37, s27
	s_mul_i32 s34, s29, s35
	s_add_co_ci_u32 s35, s38, 0
	s_wait_alu 0xfffe
	s_add_nc_u64 s[34:35], s[2:3], s[34:35]
	s_wait_alu 0xfffe
	v_add_co_u32 v4, s2, s28, s34
	s_delay_alu instid0(VALU_DEP_1) | instskip(SKIP_1) | instid1(VALU_DEP_1)
	s_cmp_lg_u32 s2, 0
	s_add_co_ci_u32 s29, s29, s35
	v_readfirstlane_b32 s28, v4
	s_wait_alu 0xfffe
	s_delay_alu instid0(VALU_DEP_1)
	s_mul_u64 s[30:31], s[30:31], s[28:29]
	s_wait_alu 0xfffe
	s_mul_hi_u32 s35, s28, s31
	s_mul_i32 s34, s28, s31
	s_mul_hi_u32 s2, s28, s30
	s_mul_i32 s33, s29, s30
	s_wait_alu 0xfffe
	s_add_nc_u64 s[34:35], s[2:3], s[34:35]
	s_mul_hi_u32 s27, s29, s30
	s_mul_hi_u32 s28, s29, s31
	s_wait_alu 0xfffe
	s_add_co_u32 s2, s34, s33
	s_add_co_ci_u32 s2, s35, s27
	s_mul_i32 s30, s29, s31
	s_add_co_ci_u32 s31, s28, 0
	s_wait_alu 0xfffe
	s_add_nc_u64 s[30:31], s[2:3], s[30:31]
	s_wait_alu 0xfffe
	v_add_co_u32 v4, s2, v4, s30
	s_delay_alu instid0(VALU_DEP_1) | instskip(SKIP_1) | instid1(VALU_DEP_1)
	s_cmp_lg_u32 s2, 0
	s_add_co_ci_u32 s2, s29, s31
	v_mul_hi_u32 v15, v5, v4
	s_wait_alu 0xfffe
	v_mad_co_u64_u32 v[7:8], null, v5, s2, 0
	v_mad_co_u64_u32 v[9:10], null, v6, v4, 0
	;; [unrolled: 1-line block ×3, first 2 shown]
	s_delay_alu instid0(VALU_DEP_3) | instskip(SKIP_1) | instid1(VALU_DEP_4)
	v_add_co_u32 v4, vcc_lo, v15, v7
	s_wait_alu 0xfffd
	v_add_co_ci_u32_e32 v7, vcc_lo, 0, v8, vcc_lo
	s_delay_alu instid0(VALU_DEP_2) | instskip(SKIP_1) | instid1(VALU_DEP_2)
	v_add_co_u32 v4, vcc_lo, v4, v9
	s_wait_alu 0xfffd
	v_add_co_ci_u32_e32 v4, vcc_lo, v7, v10, vcc_lo
	s_wait_alu 0xfffd
	v_add_co_ci_u32_e32 v7, vcc_lo, 0, v12, vcc_lo
	s_delay_alu instid0(VALU_DEP_2) | instskip(SKIP_1) | instid1(VALU_DEP_2)
	v_add_co_u32 v4, vcc_lo, v4, v11
	s_wait_alu 0xfffd
	v_add_co_ci_u32_e32 v9, vcc_lo, 0, v7, vcc_lo
	s_delay_alu instid0(VALU_DEP_2) | instskip(SKIP_1) | instid1(VALU_DEP_3)
	v_mul_lo_u32 v10, s25, v4
	v_mad_co_u64_u32 v[7:8], null, s24, v4, 0
	v_mul_lo_u32 v11, s24, v9
	s_delay_alu instid0(VALU_DEP_2) | instskip(NEXT) | instid1(VALU_DEP_2)
	v_sub_co_u32 v7, vcc_lo, v5, v7
	v_add3_u32 v8, v8, v11, v10
	s_delay_alu instid0(VALU_DEP_1) | instskip(SKIP_1) | instid1(VALU_DEP_1)
	v_sub_nc_u32_e32 v10, v6, v8
	s_wait_alu 0xfffd
	v_subrev_co_ci_u32_e64 v10, s2, s25, v10, vcc_lo
	v_add_co_u32 v11, s2, v4, 2
	s_wait_alu 0xf1ff
	v_add_co_ci_u32_e64 v12, s2, 0, v9, s2
	v_sub_co_u32 v15, s2, v7, s24
	v_sub_co_ci_u32_e32 v8, vcc_lo, v6, v8, vcc_lo
	s_wait_alu 0xf1ff
	v_subrev_co_ci_u32_e64 v10, s2, 0, v10, s2
	s_delay_alu instid0(VALU_DEP_3) | instskip(NEXT) | instid1(VALU_DEP_3)
	v_cmp_le_u32_e32 vcc_lo, s24, v15
	v_cmp_eq_u32_e64 s2, s25, v8
	s_wait_alu 0xfffd
	v_cndmask_b32_e64 v15, 0, -1, vcc_lo
	v_cmp_le_u32_e32 vcc_lo, s25, v10
	s_wait_alu 0xfffd
	v_cndmask_b32_e64 v16, 0, -1, vcc_lo
	v_cmp_le_u32_e32 vcc_lo, s24, v7
	;; [unrolled: 3-line block ×3, first 2 shown]
	s_wait_alu 0xfffd
	v_cndmask_b32_e64 v17, 0, -1, vcc_lo
	v_cmp_eq_u32_e32 vcc_lo, s25, v10
	s_wait_alu 0xf1ff
	s_delay_alu instid0(VALU_DEP_2)
	v_cndmask_b32_e64 v7, v17, v7, s2
	s_wait_alu 0xfffd
	v_cndmask_b32_e32 v10, v16, v15, vcc_lo
	v_add_co_u32 v15, vcc_lo, v4, 1
	s_wait_alu 0xfffd
	v_add_co_ci_u32_e32 v16, vcc_lo, 0, v9, vcc_lo
	s_delay_alu instid0(VALU_DEP_3) | instskip(SKIP_1) | instid1(VALU_DEP_2)
	v_cmp_ne_u32_e32 vcc_lo, 0, v10
	s_wait_alu 0xfffd
	v_cndmask_b32_e32 v8, v16, v12, vcc_lo
	v_cndmask_b32_e32 v10, v15, v11, vcc_lo
	v_cmp_ne_u32_e32 vcc_lo, 0, v7
	s_wait_alu 0xfffd
	s_delay_alu instid0(VALU_DEP_2)
	v_dual_cndmask_b32 v8, v9, v8 :: v_dual_cndmask_b32 v7, v4, v10
.LBB0_4:                                ;   in Loop: Header=BB0_2 Depth=1
	s_wait_alu 0xfffe
	s_and_not1_saveexec_b32 s2, s26
	s_cbranch_execz .LBB0_6
; %bb.5:                                ;   in Loop: Header=BB0_2 Depth=1
	v_cvt_f32_u32_e32 v4, s24
	s_sub_co_i32 s26, 0, s24
	s_delay_alu instid0(VALU_DEP_1) | instskip(NEXT) | instid1(TRANS32_DEP_1)
	v_rcp_iflag_f32_e32 v4, v4
	v_mul_f32_e32 v4, 0x4f7ffffe, v4
	s_delay_alu instid0(VALU_DEP_1) | instskip(SKIP_1) | instid1(VALU_DEP_1)
	v_cvt_u32_f32_e32 v4, v4
	s_wait_alu 0xfffe
	v_mul_lo_u32 v7, s26, v4
	s_delay_alu instid0(VALU_DEP_1) | instskip(NEXT) | instid1(VALU_DEP_1)
	v_mul_hi_u32 v7, v4, v7
	v_add_nc_u32_e32 v4, v4, v7
	s_delay_alu instid0(VALU_DEP_1) | instskip(NEXT) | instid1(VALU_DEP_1)
	v_mul_hi_u32 v4, v5, v4
	v_mul_lo_u32 v7, v4, s24
	v_add_nc_u32_e32 v8, 1, v4
	s_delay_alu instid0(VALU_DEP_2) | instskip(NEXT) | instid1(VALU_DEP_1)
	v_sub_nc_u32_e32 v7, v5, v7
	v_subrev_nc_u32_e32 v9, s24, v7
	v_cmp_le_u32_e32 vcc_lo, s24, v7
	s_wait_alu 0xfffd
	s_delay_alu instid0(VALU_DEP_2) | instskip(NEXT) | instid1(VALU_DEP_1)
	v_dual_cndmask_b32 v7, v7, v9 :: v_dual_cndmask_b32 v4, v4, v8
	v_cmp_le_u32_e32 vcc_lo, s24, v7
	s_delay_alu instid0(VALU_DEP_2) | instskip(SKIP_1) | instid1(VALU_DEP_1)
	v_add_nc_u32_e32 v8, 1, v4
	s_wait_alu 0xfffd
	v_dual_cndmask_b32 v7, v4, v8 :: v_dual_mov_b32 v8, v3
.LBB0_6:                                ;   in Loop: Header=BB0_2 Depth=1
	s_wait_alu 0xfffe
	s_or_b32 exec_lo, exec_lo, s2
	s_delay_alu instid0(VALU_DEP_1) | instskip(NEXT) | instid1(VALU_DEP_2)
	v_mul_lo_u32 v4, v8, s24
	v_mul_lo_u32 v11, v7, s25
	s_load_b64 s[26:27], s[18:19], 0x0
	v_mad_co_u64_u32 v[9:10], null, v7, s24, 0
	s_load_b64 s[24:25], s[16:17], 0x0
	s_add_nc_u64 s[20:21], s[20:21], 1
	s_add_nc_u64 s[16:17], s[16:17], 8
	s_wait_alu 0xfffe
	v_cmp_ge_u64_e64 s2, s[20:21], s[10:11]
	s_add_nc_u64 s[18:19], s[18:19], 8
	s_add_nc_u64 s[22:23], s[22:23], 8
	v_add3_u32 v4, v10, v11, v4
	v_sub_co_u32 v5, vcc_lo, v5, v9
	s_wait_alu 0xfffd
	s_delay_alu instid0(VALU_DEP_2) | instskip(SKIP_2) | instid1(VALU_DEP_1)
	v_sub_co_ci_u32_e32 v4, vcc_lo, v6, v4, vcc_lo
	s_and_b32 vcc_lo, exec_lo, s2
	s_wait_kmcnt 0x0
	v_mul_lo_u32 v6, s26, v4
	v_mul_lo_u32 v9, s27, v5
	v_mad_co_u64_u32 v[13:14], null, s26, v5, v[13:14]
	v_mul_lo_u32 v4, s24, v4
	v_mul_lo_u32 v10, s25, v5
	v_mad_co_u64_u32 v[1:2], null, s24, v5, v[1:2]
	s_delay_alu instid0(VALU_DEP_4) | instskip(NEXT) | instid1(VALU_DEP_2)
	v_add3_u32 v14, v9, v14, v6
	v_add3_u32 v2, v10, v2, v4
	s_wait_alu 0xfffe
	s_cbranch_vccnz .LBB0_9
; %bb.7:                                ;   in Loop: Header=BB0_2 Depth=1
	v_dual_mov_b32 v5, v7 :: v_dual_mov_b32 v6, v8
	s_branch .LBB0_2
.LBB0_8:
	v_dual_mov_b32 v1, v13 :: v_dual_mov_b32 v2, v14
	v_dual_mov_b32 v8, v6 :: v_dual_mov_b32 v7, v5
.LBB0_9:
	s_load_b64 s[0:1], s[0:1], 0x28
	v_mul_hi_u32 v4, 0x5555556, v0
	s_lshl_b64 s[10:11], s[10:11], 3
                                        ; implicit-def: $vgpr3
                                        ; implicit-def: $vgpr5
                                        ; implicit-def: $vgpr12
                                        ; implicit-def: $vgpr11
                                        ; implicit-def: $vgpr10
                                        ; implicit-def: $vgpr9
	s_wait_kmcnt 0x0
	v_cmp_gt_u64_e32 vcc_lo, s[0:1], v[7:8]
	v_cmp_le_u64_e64 s0, s[0:1], v[7:8]
	s_delay_alu instid0(VALU_DEP_1)
	s_and_saveexec_b32 s1, s0
	s_wait_alu 0xfffe
	s_xor_b32 s0, exec_lo, s1
; %bb.10:
	v_mul_u32_u24_e32 v3, 48, v4
                                        ; implicit-def: $vgpr4
                                        ; implicit-def: $vgpr13_vgpr14
	s_delay_alu instid0(VALU_DEP_1) | instskip(NEXT) | instid1(VALU_DEP_1)
	v_sub_nc_u32_e32 v3, v0, v3
                                        ; implicit-def: $vgpr0
	v_add_nc_u32_e32 v5, 48, v3
	v_add_nc_u32_e32 v12, 0x60, v3
	;; [unrolled: 1-line block ×3, first 2 shown]
	v_or_b32_e32 v10, 0xc0, v3
	v_add_nc_u32_e32 v9, 0xf0, v3
; %bb.11:
	s_wait_alu 0xfffe
	s_or_saveexec_b32 s1, s0
	s_add_nc_u64 s[2:3], s[14:15], s[10:11]
	s_wait_alu 0xfffe
	s_xor_b32 exec_lo, exec_lo, s1
	s_cbranch_execz .LBB0_13
; %bb.12:
	s_add_nc_u64 s[10:11], s[12:13], s[10:11]
	s_load_b64 s[10:11], s[10:11], 0x0
	s_wait_kmcnt 0x0
	v_mul_lo_u32 v3, s11, v7
	v_mul_lo_u32 v9, s10, v8
	v_mad_co_u64_u32 v[5:6], null, s10, v7, 0
	s_delay_alu instid0(VALU_DEP_1) | instskip(SKIP_2) | instid1(VALU_DEP_3)
	v_add3_u32 v6, v6, v9, v3
	v_mul_u32_u24_e32 v3, 48, v4
	v_lshlrev_b64_e32 v[9:10], 2, v[13:14]
	v_lshlrev_b64_e32 v[4:5], 2, v[5:6]
	s_delay_alu instid0(VALU_DEP_3) | instskip(NEXT) | instid1(VALU_DEP_1)
	v_sub_nc_u32_e32 v3, v0, v3
	v_lshlrev_b32_e32 v6, 2, v3
	s_delay_alu instid0(VALU_DEP_3) | instskip(SKIP_1) | instid1(VALU_DEP_4)
	v_add_co_u32 v0, s0, s4, v4
	s_wait_alu 0xf1ff
	v_add_co_ci_u32_e64 v4, s0, s5, v5, s0
	v_add_nc_u32_e32 v12, 0x60, v3
	s_delay_alu instid0(VALU_DEP_3) | instskip(SKIP_1) | instid1(VALU_DEP_3)
	v_add_co_u32 v0, s0, v0, v9
	s_wait_alu 0xf1ff
	v_add_co_ci_u32_e64 v5, s0, v4, v10, s0
	v_add_nc_u32_e32 v11, 0x90, v3
	s_delay_alu instid0(VALU_DEP_3) | instskip(SKIP_1) | instid1(VALU_DEP_3)
	v_add_co_u32 v4, s0, v0, v6
	s_wait_alu 0xf1ff
	v_add_co_ci_u32_e64 v5, s0, 0, v5, s0
	s_clause 0xf
	global_load_b32 v0, v[4:5], off
	global_load_b32 v13, v[4:5], off offset:192
	global_load_b32 v14, v[4:5], off offset:384
	;; [unrolled: 1-line block ×15, first 2 shown]
	v_add_nc_u32_e32 v6, 0, v6
	v_add_nc_u32_e32 v5, 48, v3
	v_or_b32_e32 v10, 0xc0, v3
	v_add_nc_u32_e32 v9, 0xf0, v3
	s_delay_alu instid0(VALU_DEP_4)
	v_add_nc_u32_e32 v27, 0x400, v6
	v_add_nc_u32_e32 v28, 0x600, v6
	;; [unrolled: 1-line block ×3, first 2 shown]
	s_wait_loadcnt 0xe
	ds_store_2addr_b32 v6, v0, v13 offset1:48
	s_wait_loadcnt 0xc
	ds_store_2addr_b32 v6, v14, v15 offset0:96 offset1:144
	s_wait_loadcnt 0xa
	ds_store_2addr_b32 v6, v16, v17 offset0:192 offset1:240
	;; [unrolled: 2-line block ×7, first 2 shown]
.LBB0_13:
	s_or_b32 exec_lo, exec_lo, s1
	v_lshl_add_u32 v0, v3, 2, 0
	s_load_b64 s[2:3], s[2:3], 0x0
	global_wb scope:SCOPE_SE
	s_wait_dscnt 0x0
	s_wait_kmcnt 0x0
	s_barrier_signal -1
	s_barrier_wait -1
	v_add_nc_u32_e32 v30, 0x400, v0
	v_add_nc_u32_e32 v31, 0x800, v0
	global_inv scope:SCOPE_SE
	ds_load_2addr_b32 v[14:15], v0 offset1:48
	ds_load_2addr_b32 v[16:17], v0 offset0:96 offset1:144
	v_add_nc_u32_e32 v4, 0x600, v0
	ds_load_2addr_b32 v[18:19], v0 offset0:192 offset1:240
	ds_load_2addr_b32 v[20:21], v30 offset0:32 offset1:80
	;; [unrolled: 1-line block ×6, first 2 shown]
	v_mad_u32_u24 v13, v3, 60, v0
	global_wb scope:SCOPE_SE
	s_wait_dscnt 0x0
	s_barrier_signal -1
	s_barrier_wait -1
	global_inv scope:SCOPE_SE
	v_cmp_gt_u32_e64 s0, 16, v3
	v_pk_add_f16 v4, v14, v22 neg_lo:[0,1] neg_hi:[0,1]
	v_pk_add_f16 v23, v15, v23 neg_lo:[0,1] neg_hi:[0,1]
	v_pk_add_f16 v22, v16, v26 neg_lo:[0,1] neg_hi:[0,1]
	v_pk_add_f16 v26, v17, v27 neg_lo:[0,1] neg_hi:[0,1]
	v_pk_add_f16 v6, v18, v24 neg_lo:[0,1] neg_hi:[0,1]
	v_pk_add_f16 v24, v20, v28 neg_lo:[0,1] neg_hi:[0,1]
	v_pk_add_f16 v25, v19, v25 neg_lo:[0,1] neg_hi:[0,1]
	v_pk_add_f16 v27, v21, v29 neg_lo:[0,1] neg_hi:[0,1]
	v_lshrrev_b32_e32 v29, 16, v4
	v_lshrrev_b32_e32 v33, 16, v22
	;; [unrolled: 1-line block ×8, first 2 shown]
	v_pk_fma_f16 v18, v18, 2.0, v6 op_sel_hi:[1,0,1] neg_lo:[0,0,1] neg_hi:[0,0,1]
	v_pk_fma_f16 v20, v20, 2.0, v24 op_sel_hi:[1,0,1] neg_lo:[0,0,1] neg_hi:[0,0,1]
	;; [unrolled: 1-line block ×4, first 2 shown]
	v_add_f16_e32 v6, v29, v6
	v_add_f16_e32 v24, v33, v24
	;; [unrolled: 1-line block ×4, first 2 shown]
	v_sub_f16_e32 v28, v4, v28
	v_sub_f16_e32 v32, v22, v32
	;; [unrolled: 1-line block ×4, first 2 shown]
	v_pk_fma_f16 v14, v14, 2.0, v4 op_sel_hi:[1,0,1] neg_lo:[0,0,1] neg_hi:[0,0,1]
	v_pk_fma_f16 v15, v15, 2.0, v23 op_sel_hi:[1,0,1] neg_lo:[0,0,1] neg_hi:[0,0,1]
	v_fma_f16 v29, v29, 2.0, -v6
	v_fma_f16 v33, v33, 2.0, -v24
	;; [unrolled: 1-line block ×4, first 2 shown]
	v_fmamk_f16 v41, v24, 0x39a8, v6
	v_pk_fma_f16 v16, v16, 2.0, v22 op_sel_hi:[1,0,1] neg_lo:[0,0,1] neg_hi:[0,0,1]
	v_pk_fma_f16 v17, v17, 2.0, v26 op_sel_hi:[1,0,1] neg_lo:[0,0,1] neg_hi:[0,0,1]
	v_fma_f16 v4, v4, 2.0, -v28
	v_fma_f16 v22, v22, 2.0, -v32
	;; [unrolled: 1-line block ×4, first 2 shown]
	v_fmamk_f16 v40, v32, 0x39a8, v28
	v_pk_add_f16 v18, v14, v18 neg_lo:[0,1] neg_hi:[0,1]
	v_pk_add_f16 v19, v15, v19 neg_lo:[0,1] neg_hi:[0,1]
	v_fmamk_f16 v39, v33, 0xb9a8, v29
	v_fmac_f16_e32 v41, 0x39a8, v32
	v_fmamk_f16 v32, v37, 0xb9a8, v35
	v_pk_add_f16 v20, v16, v20 neg_lo:[0,1] neg_hi:[0,1]
	v_pk_add_f16 v21, v17, v21 neg_lo:[0,1] neg_hi:[0,1]
	v_fmamk_f16 v38, v22, 0xb9a8, v4
	v_fmac_f16_e32 v40, 0xb9a8, v24
	v_fmamk_f16 v24, v26, 0xb9a8, v23
	v_fmac_f16_e32 v39, 0x39a8, v22
	v_lshrrev_b32_e32 v22, 16, v18
	v_lshrrev_b32_e32 v42, 16, v19
	v_fmac_f16_e32 v32, 0x39a8, v26
	v_fmamk_f16 v26, v36, 0x39a8, v34
	v_fmac_f16_e32 v38, 0xb9a8, v33
	v_lshrrev_b32_e32 v33, 16, v20
	v_fmac_f16_e32 v24, 0xb9a8, v37
	v_lshrrev_b32_e32 v37, 16, v21
	v_pk_fma_f16 v16, v16, 2.0, v20 op_sel_hi:[1,0,1] neg_lo:[0,0,1] neg_hi:[0,0,1]
	v_pk_fma_f16 v17, v17, 2.0, v21 op_sel_hi:[1,0,1] neg_lo:[0,0,1] neg_hi:[0,0,1]
	v_add_f16_e32 v20, v22, v20
	v_fma_f16 v29, v29, 2.0, -v39
	v_add_f16_e32 v21, v42, v21
	v_fmamk_f16 v43, v27, 0x39a8, v25
	v_fmac_f16_e32 v26, 0xb9a8, v27
	v_fma_f16 v27, v35, 2.0, -v32
	v_sub_f16_e32 v33, v18, v33
	v_sub_f16_e32 v37, v19, v37
	v_fma_f16 v4, v4, 2.0, -v38
	v_fma_f16 v22, v22, 2.0, -v20
	;; [unrolled: 1-line block ×4, first 2 shown]
	v_fmac_f16_e32 v43, 0x39a8, v36
	v_fmamk_f16 v42, v27, 0xbb64, v29
	v_pk_fma_f16 v14, v14, 2.0, v18 op_sel_hi:[1,0,1] neg_lo:[0,0,1] neg_hi:[0,0,1]
	v_pk_fma_f16 v15, v15, 2.0, v19 op_sel_hi:[1,0,1] neg_lo:[0,0,1] neg_hi:[0,0,1]
	v_fma_f16 v18, v18, 2.0, -v33
	v_fma_f16 v19, v19, 2.0, -v37
	;; [unrolled: 1-line block ×3, first 2 shown]
	v_fmamk_f16 v36, v23, 0xbb64, v4
	v_fma_f16 v25, v25, 2.0, -v43
	v_fmac_f16_e32 v42, 0x361f, v23
	v_fmamk_f16 v23, v35, 0xb9a8, v22
	v_fma_f16 v28, v28, 2.0, -v40
	v_fma_f16 v34, v34, 2.0, -v26
	v_fmamk_f16 v44, v19, 0xb9a8, v18
	v_pk_add_f16 v17, v15, v17 neg_lo:[0,1] neg_hi:[0,1]
	v_fmac_f16_e32 v36, 0xb61f, v27
	v_fmac_f16_e32 v23, 0x39a8, v19
	v_fmamk_f16 v19, v25, 0xb61f, v6
	v_pk_add_f16 v16, v14, v16 neg_lo:[0,1] neg_hi:[0,1]
	v_fmac_f16_e32 v44, 0xb9a8, v35
	v_fmamk_f16 v35, v34, 0xb61f, v28
	v_fma_f16 v27, v4, 2.0, -v36
	v_lshrrev_b32_e32 v4, 16, v17
	v_fmac_f16_e32 v19, 0x3b64, v34
	v_fmamk_f16 v45, v24, 0x361f, v38
	v_fmamk_f16 v46, v32, 0x361f, v39
	v_fmac_f16_e32 v35, 0xbb64, v25
	v_lshrrev_b32_e32 v25, 16, v16
	v_sub_f16_e32 v34, v16, v4
	v_fma_f16 v47, v6, 2.0, -v19
	v_fmac_f16_e32 v45, 0xbb64, v32
	v_fmac_f16_e32 v46, 0x3b64, v24
	v_fmamk_f16 v24, v37, 0x39a8, v33
	v_fmamk_f16 v32, v21, 0x39a8, v20
	;; [unrolled: 1-line block ×4, first 2 shown]
	v_pk_fma_f16 v14, v14, 2.0, v16 op_sel_hi:[1,0,1] neg_lo:[0,0,1] neg_hi:[0,0,1]
	v_pk_fma_f16 v15, v15, 2.0, v17 op_sel_hi:[1,0,1] neg_lo:[0,0,1] neg_hi:[0,0,1]
	v_add_f16_e32 v17, v25, v17
	v_fmac_f16_e32 v24, 0xb9a8, v21
	v_fmac_f16_e32 v32, 0x39a8, v37
	;; [unrolled: 1-line block ×4, first 2 shown]
	v_pk_add_f16 v15, v14, v15 neg_lo:[0,1] neg_hi:[0,1]
	v_fma_f16 v29, v29, 2.0, -v42
	v_fma_f16 v18, v18, 2.0, -v44
	;; [unrolled: 1-line block ×12, first 2 shown]
	v_pk_fma_f16 v14, v14, 2.0, v15 op_sel_hi:[1,0,1] neg_lo:[0,0,1] neg_hi:[0,0,1]
	v_pack_b32_f16 v27, v27, v29
	v_pack_b32_f16 v28, v28, v47
	;; [unrolled: 1-line block ×14, first 2 shown]
	ds_store_2addr_b32 v13, v14, v27 offset1:1
	ds_store_2addr_b32 v13, v18, v28 offset0:2 offset1:3
	ds_store_2addr_b32 v13, v16, v21 offset0:4 offset1:5
	;; [unrolled: 1-line block ×7, first 2 shown]
	v_lshl_add_u32 v28, v12, 2, 0
	v_lshl_add_u32 v27, v11, 2, 0
	;; [unrolled: 1-line block ×3, first 2 shown]
	global_wb scope:SCOPE_SE
	s_wait_dscnt 0x0
	s_barrier_signal -1
	s_barrier_wait -1
	global_inv scope:SCOPE_SE
	ds_load_2addr_stride64_b32 v[15:16], v0 offset1:4
	ds_load_2addr_b32 v[17:18], v31 offset1:48
	v_lshl_add_u32 v29, v5, 2, 0
	ds_load_2addr_b32 v[19:20], v30 offset0:48 offset1:96
	ds_load_2addr_b32 v[23:24], v31 offset0:96 offset1:144
	;; [unrolled: 1-line block ×3, first 2 shown]
	ds_load_b32 v34, v28
	ds_load_b32 v33, v27
	;; [unrolled: 1-line block ×4, first 2 shown]
	ds_load_b32 v40, v0 offset:2816
	v_lshl_add_u32 v25, v9, 2, 0
                                        ; implicit-def: $vgpr30
                                        ; implicit-def: $vgpr14
                                        ; implicit-def: $vgpr31
	s_and_saveexec_b32 s1, s0
	s_cbranch_execz .LBB0_15
; %bb.14:
	v_mad_i32_i24 v4, 0xffffffc4, v3, v13
	s_delay_alu instid0(VALU_DEP_1)
	v_add_nc_u32_e32 v6, 0xc0, v4
	ds_load_b32 v4, v25
	ds_load_2addr_stride64_b32 v[13:14], v6 offset0:7 offset1:11
	s_wait_dscnt 0x1
	v_lshrrev_b32_e32 v6, 16, v4
	s_wait_dscnt 0x0
	v_lshrrev_b32_e32 v31, 16, v13
	v_lshrrev_b32_e32 v30, 16, v14
.LBB0_15:
	s_wait_alu 0xfffe
	s_or_b32 exec_lo, exec_lo, s1
	v_lshlrev_b32_e32 v36, 3, v3
	v_and_b32_e32 v41, 15, v3
	v_lshrrev_b32_e32 v59, 4, v5
	v_lshrrev_b32_e32 v60, 4, v12
	;; [unrolled: 1-line block ×3, first 2 shown]
	v_and_b32_e32 v39, 0x78, v36
	v_lshlrev_b32_e32 v42, 3, v41
	v_lshrrev_b32_e32 v62, 4, v10
	v_lshrrev_b32_e32 v58, 4, v3
	v_mul_lo_u32 v59, v59, 48
	s_clause 0x3
	global_load_b32 v36, v39, s[8:9]
	global_load_b32 v37, v39, s[8:9] offset:4
	global_load_b32 v38, v39, s[8:9] offset:2
	global_load_u16 v42, v42, s[8:9]
	v_mul_lo_u32 v60, v60, 48
	v_mul_lo_u32 v61, v61, 48
	v_mul_lo_u32 v62, v62, 48
	v_mul_u32_u24_e32 v58, 48, v58
	s_wait_dscnt 0x9
	v_lshrrev_b32_e32 v48, 16, v16
	s_wait_dscnt 0x8
	v_lshrrev_b32_e32 v49, 16, v17
	v_or_b32_e32 v59, v59, v41
	s_wait_dscnt 0x7
	v_lshrrev_b32_e32 v50, 16, v19
	v_or_b32_e32 v58, v58, v41
	v_or_b32_e32 v60, v60, v41
	;; [unrolled: 1-line block ×4, first 2 shown]
	v_lshrrev_b32_e32 v51, 16, v18
	v_lshrrev_b32_e32 v52, 16, v20
	s_wait_dscnt 0x6
	v_lshrrev_b32_e32 v53, 16, v23
	s_wait_dscnt 0x5
	v_lshrrev_b32_e32 v54, 16, v21
	v_lshrrev_b32_e32 v55, 16, v24
	;; [unrolled: 1-line block ×3, first 2 shown]
	s_wait_dscnt 0x0
	v_lshrrev_b32_e32 v57, 16, v40
	v_lshrrev_b32_e32 v43, 16, v15
	;; [unrolled: 1-line block ×6, first 2 shown]
	v_lshl_add_u32 v58, v58, 2, 0
	v_lshl_add_u32 v59, v59, 2, 0
	;; [unrolled: 1-line block ×3, first 2 shown]
	global_wb scope:SCOPE_SE
	s_wait_loadcnt 0x0
	s_barrier_signal -1
	s_barrier_wait -1
	global_inv scope:SCOPE_SE
	v_lshl_add_u32 v61, v61, 2, 0
	v_lshl_add_u32 v41, v41, 2, 0
	v_lshrrev_b32_e32 v62, 16, v36
	v_lshrrev_b32_e32 v63, 16, v37
	;; [unrolled: 1-line block ×3, first 2 shown]
	s_delay_alu instid0(VALU_DEP_3) | instskip(SKIP_1) | instid1(VALU_DEP_4)
	v_mul_f16_e32 v65, v62, v48
	v_mul_f16_e32 v66, v62, v16
	;; [unrolled: 1-line block ×20, first 2 shown]
	v_fma_f16 v16, v42, v16, -v65
	v_fmac_f16_e32 v66, v42, v48
	v_fma_f16 v17, v64, v17, -v67
	v_fmac_f16_e32 v68, v64, v49
	;; [unrolled: 2-line block ×10, first 2 shown]
	v_add_f16_e32 v48, v16, v17
	v_add_f16_e32 v51, v66, v68
	;; [unrolled: 1-line block ×7, first 2 shown]
	v_sub_f16_e32 v49, v66, v68
	v_add_f16_e32 v50, v43, v66
	v_sub_f16_e32 v16, v16, v17
	v_add_f16_e32 v52, v35, v19
	;; [unrolled: 2-line block ×3, first 2 shown]
	v_add_f16_e32 v57, v34, v20
	v_sub_f16_e32 v65, v74, v76
	v_add_f16_e32 v66, v45, v74
	v_add_f16_e32 v69, v33, v21
	;; [unrolled: 1-line block ×3, first 2 shown]
	v_sub_f16_e32 v71, v78, v80
	v_add_f16_e32 v73, v46, v78
	v_add_f16_e32 v74, v78, v80
	;; [unrolled: 1-line block ×4, first 2 shown]
	v_sub_f16_e32 v78, v62, v63
	v_add_f16_e32 v79, v47, v62
	v_add_f16_e32 v62, v62, v63
	v_fmac_f16_e32 v15, -0.5, v48
	v_fmac_f16_e32 v43, -0.5, v51
	v_sub_f16_e32 v19, v19, v18
	v_fmac_f16_e32 v35, -0.5, v53
	v_fmac_f16_e32 v44, -0.5, v56
	v_sub_f16_e32 v20, v20, v23
	;; [unrolled: 3-line block ×3, first 2 shown]
	v_sub_f16_e32 v22, v22, v40
	v_add_f16_e32 v17, v42, v17
	v_add_f16_e32 v42, v50, v68
	;; [unrolled: 1-line block ×6, first 2 shown]
	v_fmac_f16_e32 v33, -0.5, v70
	v_add_f16_e32 v51, v73, v80
	v_fmac_f16_e32 v46, -0.5, v74
	v_add_f16_e32 v40, v75, v40
	;; [unrolled: 2-line block ×3, first 2 shown]
	v_fmac_f16_e32 v47, -0.5, v62
	v_fmamk_f16 v53, v49, 0x3aee, v15
	v_fmac_f16_e32 v15, 0xbaee, v49
	v_fmamk_f16 v49, v16, 0xbaee, v43
	v_fmac_f16_e32 v43, 0x3aee, v16
	v_add_f16_e32 v48, v55, v72
	v_fmamk_f16 v16, v54, 0x3aee, v35
	v_fmac_f16_e32 v35, 0xbaee, v54
	v_fmamk_f16 v54, v19, 0xbaee, v44
	v_fmac_f16_e32 v44, 0x3aee, v19
	v_fmamk_f16 v19, v65, 0x3aee, v34
	v_fmamk_f16 v55, v20, 0xbaee, v45
	v_fmac_f16_e32 v34, 0xbaee, v65
	v_fmac_f16_e32 v45, 0x3aee, v20
	v_fmamk_f16 v20, v71, 0x3aee, v33
	v_fmac_f16_e32 v33, 0xbaee, v71
	v_fmamk_f16 v56, v21, 0xbaee, v46
	;; [unrolled: 2-line block ×4, first 2 shown]
	v_fmac_f16_e32 v47, 0x3aee, v22
	v_pack_b32_f16 v17, v17, v42
	v_pack_b32_f16 v22, v23, v50
	;; [unrolled: 1-line block ×15, first 2 shown]
	ds_store_2addr_b32 v58, v17, v40 offset1:16
	ds_store_b32 v58, v15 offset:128
	ds_store_2addr_b32 v59, v18, v16 offset1:16
	ds_store_b32 v59, v35 offset:128
	;; [unrolled: 2-line block ×5, first 2 shown]
	s_and_saveexec_b32 s1, s0
	s_cbranch_execz .LBB0_17
; %bb.16:
	v_add_co_u32 v15, s0, s8, v39
	s_wait_alu 0xf1ff
	v_add_co_ci_u32_e64 v16, null, s9, 0, s0
	v_mul_f16_e32 v18, v31, v38
	s_delay_alu instid0(VALU_DEP_3) | instskip(SKIP_1) | instid1(VALU_DEP_3)
	v_add_co_u32 v15, s0, v15, 4
	s_wait_alu 0xf1ff
	v_add_co_ci_u32_e64 v16, s0, 0, v16, s0
	global_load_u16 v15, v[15:16], off offset:2
	v_mul_f16_e32 v16, v13, v38
	v_fma_f16 v13, v13, v36, -v18
	s_delay_alu instid0(VALU_DEP_2) | instskip(NEXT) | instid1(VALU_DEP_2)
	v_fmac_f16_e32 v16, v31, v36
	v_add_f16_e32 v20, v4, v13
	s_delay_alu instid0(VALU_DEP_2) | instskip(SKIP_3) | instid1(VALU_DEP_2)
	v_add_f16_e32 v18, v6, v16
	s_wait_loadcnt 0x0
	v_mul_f16_e32 v17, v14, v15
	v_mul_f16_e32 v15, v30, v15
	v_fmac_f16_e32 v17, v30, v37
	s_delay_alu instid0(VALU_DEP_2) | instskip(NEXT) | instid1(VALU_DEP_2)
	v_fma_f16 v14, v14, v37, -v15
	v_add_f16_e32 v15, v16, v17
	s_delay_alu instid0(VALU_DEP_2) | instskip(SKIP_2) | instid1(VALU_DEP_4)
	v_add_f16_e32 v19, v13, v14
	v_sub_f16_e32 v13, v13, v14
	v_add_f16_e32 v14, v20, v14
	v_fmac_f16_e32 v6, -0.5, v15
	v_sub_f16_e32 v15, v16, v17
	v_fmac_f16_e32 v4, -0.5, v19
	v_add_f16_e32 v16, v18, v17
	s_delay_alu instid0(VALU_DEP_4) | instskip(SKIP_1) | instid1(VALU_DEP_4)
	v_fmamk_f16 v17, v13, 0x3aee, v6
	v_fmac_f16_e32 v6, 0xbaee, v13
	v_fmamk_f16 v13, v15, 0xbaee, v4
	v_fmac_f16_e32 v4, 0x3aee, v15
	v_add_nc_u32_e32 v15, 0x800, v0
	v_pack_b32_f16 v14, v14, v16
	s_delay_alu instid0(VALU_DEP_3)
	v_pack_b32_f16 v4, v4, v6
	v_pack_b32_f16 v6, v13, v17
	ds_store_2addr_b32 v15, v14, v4 offset0:208 offset1:224
	ds_store_b32 v0, v6 offset:3008
.LBB0_17:
	s_wait_alu 0xfffe
	s_or_b32 exec_lo, exec_lo, s1
	v_mul_u32_u24_e32 v4, 15, v3
	global_wb scope:SCOPE_SE
	s_wait_dscnt 0x0
	s_barrier_signal -1
	s_barrier_wait -1
	global_inv scope:SCOPE_SE
	v_lshlrev_b32_e32 v4, 2, v4
	v_add_nc_u32_e32 v6, 0x400, v0
	v_add_nc_u32_e32 v37, 0x600, v0
	v_add_nc_u32_e32 v48, 0x800, v0
	v_add_nc_u32_e32 v49, 0x200, v0
	s_clause 0x3
	global_load_b128 v[13:16], v4, s[8:9] offset:128
	global_load_b128 v[17:20], v4, s[8:9] offset:144
	;; [unrolled: 1-line block ×3, first 2 shown]
	global_load_b96 v[30:32], v4, s[8:9] offset:176
	ds_load_b32 v4, v25
	ds_load_b32 v43, v0
	;; [unrolled: 1-line block ×6, first 2 shown]
	ds_load_2addr_b32 v[33:34], v6 offset0:32 offset1:80
	ds_load_2addr_b32 v[35:36], v6 offset0:128 offset1:176
	;; [unrolled: 1-line block ×5, first 2 shown]
	global_wb scope:SCOPE_SE
	s_wait_loadcnt_dscnt 0x0
	s_barrier_signal -1
	s_barrier_wait -1
	global_inv scope:SCOPE_SE
	s_mov_b32 s1, exec_lo
	v_lshrrev_b32_e32 v55, 16, v43
	v_lshrrev_b32_e32 v51, 16, v44
	v_lshrrev_b32_e32 v52, 16, v45
	v_lshrrev_b32_e32 v50, 16, v4
	v_lshrrev_b32_e32 v53, 16, v46
	v_lshrrev_b32_e32 v54, 16, v47
	v_lshrrev_b32_e32 v56, 16, v33
	v_lshrrev_b32_e32 v57, 16, v34
	v_lshrrev_b32_e32 v58, 16, v35
	v_lshrrev_b32_e32 v59, 16, v36
	v_lshrrev_b32_e32 v60, 16, v37
	v_lshrrev_b32_e32 v61, 16, v38
	v_lshrrev_b32_e32 v62, 16, v39
	v_lshrrev_b32_e32 v63, 16, v40
	v_lshrrev_b32_e32 v64, 16, v41
	v_lshrrev_b32_e32 v65, 16, v42
	v_lshrrev_b32_e32 v66, 16, v13
	v_lshrrev_b32_e32 v67, 16, v14
	v_lshrrev_b32_e32 v68, 16, v15
	v_lshrrev_b32_e32 v69, 16, v16
	v_lshrrev_b32_e32 v70, 16, v17
	v_lshrrev_b32_e32 v71, 16, v18
	v_lshrrev_b32_e32 v72, 16, v19
	v_lshrrev_b32_e32 v73, 16, v20
	v_lshrrev_b32_e32 v74, 16, v21
	v_lshrrev_b32_e32 v75, 16, v22
	v_lshrrev_b32_e32 v76, 16, v23
	v_lshrrev_b32_e32 v77, 16, v24
	v_lshrrev_b32_e32 v78, 16, v30
	v_lshrrev_b32_e32 v79, 16, v31
	v_lshrrev_b32_e32 v80, 16, v32
	v_mul_f16_e32 v81, v66, v51
	v_mul_f16_e32 v66, v66, v44
	;; [unrolled: 1-line block ×30, first 2 shown]
	v_fma_f16 v44, v13, v44, -v81
	v_fmac_f16_e32 v66, v13, v51
	v_fma_f16 v13, v14, v45, -v82
	v_fmac_f16_e32 v67, v14, v52
	v_fma_f16 v14, v15, v46, -v83
	v_fmac_f16_e32 v68, v15, v53
	v_fma_f16 v15, v16, v47, -v84
	v_fmac_f16_e32 v69, v16, v54
	v_fma_f16 v4, v4, v17, -v85
	v_fmac_f16_e32 v70, v50, v17
	v_fma_f16 v16, v33, v18, -v86
	v_fmac_f16_e32 v71, v56, v18
	v_fma_f16 v17, v34, v19, -v87
	v_fmac_f16_e32 v72, v57, v19
	v_fma_f16 v18, v35, v20, -v88
	v_fmac_f16_e32 v73, v58, v20
	v_fma_f16 v19, v36, v21, -v89
	v_fmac_f16_e32 v74, v59, v21
	v_fma_f16 v20, v37, v22, -v90
	v_fmac_f16_e32 v75, v60, v22
	v_fma_f16 v21, v38, v23, -v91
	v_fmac_f16_e32 v76, v61, v23
	v_fma_f16 v22, v39, v24, -v92
	v_fmac_f16_e32 v77, v62, v24
	v_fma_f16 v23, v40, v30, -v93
	v_fmac_f16_e32 v78, v63, v30
	v_fma_f16 v24, v41, v31, -v94
	v_fmac_f16_e32 v79, v64, v31
	v_fma_f16 v30, v42, v32, -v95
	v_fmac_f16_e32 v80, v65, v32
	v_sub_f16_e32 v18, v43, v18
	v_sub_f16_e32 v31, v55, v73
	;; [unrolled: 1-line block ×16, first 2 shown]
	v_fma_f16 v39, v43, 2.0, -v18
	v_fma_f16 v40, v55, 2.0, -v31
	v_fma_f16 v15, v15, 2.0, -v22
	v_fma_f16 v41, v69, 2.0, -v32
	v_fma_f16 v13, v13, 2.0, -v20
	v_fma_f16 v42, v67, 2.0, -v33
	v_fma_f16 v16, v16, 2.0, -v24
	v_fma_f16 v43, v71, 2.0, -v34
	v_fma_f16 v44, v44, 2.0, -v19
	v_fma_f16 v45, v66, 2.0, -v35
	v_fma_f16 v4, v4, 2.0, -v23
	v_fma_f16 v46, v70, 2.0, -v36
	v_fma_f16 v14, v14, 2.0, -v21
	v_fma_f16 v47, v68, 2.0, -v37
	v_fma_f16 v17, v17, 2.0, -v30
	v_fma_f16 v50, v72, 2.0, -v38
	v_sub_f16_e32 v32, v18, v32
	v_add_f16_e32 v22, v31, v22
	v_sub_f16_e32 v34, v20, v34
	v_add_f16_e32 v24, v33, v24
	;; [unrolled: 2-line block ×4, first 2 shown]
	v_sub_f16_e32 v15, v39, v15
	v_sub_f16_e32 v41, v40, v41
	v_fma_f16 v18, v18, 2.0, -v32
	v_fma_f16 v31, v31, 2.0, -v22
	v_sub_f16_e32 v16, v13, v16
	v_sub_f16_e32 v43, v42, v43
	v_fma_f16 v20, v20, 2.0, -v34
	v_fma_f16 v33, v33, 2.0, -v24
	;; [unrolled: 4-line block ×4, first 2 shown]
	v_fmamk_f16 v51, v34, 0x39a8, v32
	v_fmamk_f16 v52, v24, 0x39a8, v22
	;; [unrolled: 1-line block ×4, first 2 shown]
	v_fma_f16 v39, v39, 2.0, -v15
	v_fma_f16 v40, v40, 2.0, -v41
	;; [unrolled: 1-line block ×8, first 2 shown]
	v_fmamk_f16 v55, v20, 0xb9a8, v18
	v_fmamk_f16 v56, v33, 0xb9a8, v31
	v_fmac_f16_e32 v51, 0xb9a8, v24
	v_fmac_f16_e32 v52, 0x39a8, v34
	v_fmamk_f16 v24, v21, 0xb9a8, v19
	v_fmamk_f16 v34, v37, 0xb9a8, v35
	v_sub_f16_e32 v43, v15, v43
	v_add_f16_e32 v16, v41, v16
	v_sub_f16_e32 v50, v4, v50
	v_add_f16_e32 v17, v46, v17
	v_fmac_f16_e32 v53, 0xb9a8, v30
	v_fmac_f16_e32 v54, 0x39a8, v38
	v_sub_f16_e32 v13, v39, v13
	v_sub_f16_e32 v30, v40, v42
	v_fmac_f16_e32 v55, 0xb9a8, v33
	v_fmac_f16_e32 v56, 0x39a8, v20
	v_sub_f16_e32 v14, v44, v14
	v_sub_f16_e32 v33, v45, v47
	v_fmac_f16_e32 v24, 0xb9a8, v37
	v_fmac_f16_e32 v34, 0x39a8, v21
	v_fma_f16 v15, v15, 2.0, -v43
	v_fma_f16 v20, v41, 2.0, -v16
	;; [unrolled: 1-line block ×8, first 2 shown]
	v_fmamk_f16 v37, v50, 0x39a8, v43
	v_fmamk_f16 v38, v17, 0x39a8, v16
	;; [unrolled: 1-line block ×4, first 2 shown]
	v_fma_f16 v39, v39, 2.0, -v13
	v_fma_f16 v40, v40, 2.0, -v30
	;; [unrolled: 1-line block ×8, first 2 shown]
	v_fmamk_f16 v46, v4, 0xb9a8, v15
	v_fmamk_f16 v47, v21, 0xb9a8, v20
	;; [unrolled: 1-line block ×4, first 2 shown]
	v_sub_f16_e32 v33, v13, v33
	v_add_f16_e32 v14, v30, v14
	v_fmamk_f16 v60, v34, 0x361f, v56
	v_fmac_f16_e32 v37, 0xb9a8, v17
	v_fmac_f16_e32 v38, 0x39a8, v50
	;; [unrolled: 1-line block ×4, first 2 shown]
	v_sub_f16_e32 v17, v39, v44
	v_sub_f16_e32 v44, v40, v45
	v_fmamk_f16 v45, v19, 0xbb64, v18
	v_fmamk_f16 v50, v35, 0xbb64, v31
	;; [unrolled: 1-line block ×3, first 2 shown]
	v_fmac_f16_e32 v46, 0xb9a8, v21
	v_fmac_f16_e32 v47, 0x39a8, v4
	v_fmac_f16_e32 v57, 0xbb64, v23
	v_fmac_f16_e32 v58, 0x3b64, v36
	v_fma_f16 v4, v13, 2.0, -v33
	v_fma_f16 v13, v30, 2.0, -v14
	v_fmac_f16_e32 v60, 0x3b64, v24
	v_fma_f16 v21, v43, 2.0, -v37
	v_fma_f16 v16, v16, 2.0, -v38
	;; [unrolled: 1-line block ×4, first 2 shown]
	v_fmac_f16_e32 v45, 0xb61f, v35
	v_fmac_f16_e32 v50, 0x361f, v19
	;; [unrolled: 1-line block ×3, first 2 shown]
	v_fma_f16 v15, v15, 2.0, -v46
	v_fma_f16 v19, v20, 2.0, -v47
	;; [unrolled: 1-line block ×6, first 2 shown]
	v_pack_b32_f16 v4, v4, v13
	v_pack_b32_f16 v13, v21, v16
	;; [unrolled: 1-line block ×3, first 2 shown]
	v_fma_f16 v18, v18, 2.0, -v45
	v_fma_f16 v23, v31, 2.0, -v50
	;; [unrolled: 1-line block ×4, first 2 shown]
	v_pack_b32_f16 v15, v15, v19
	v_pack_b32_f16 v19, v20, v22
	;; [unrolled: 1-line block ×13, first 2 shown]
	ds_store_2addr_b32 v0, v15, v19 offset0:96 offset1:144
	ds_store_2addr_b32 v0, v31, v18 offset1:48
	ds_store_b32 v26, v4
	ds_store_2addr_b32 v49, v22, v13 offset0:112 offset1:160
	ds_store_2addr_b32 v6, v16, v17 offset0:80 offset1:128
	;; [unrolled: 1-line block ×5, first 2 shown]
	ds_store_b32 v0, v33 offset:2880
	global_wb scope:SCOPE_SE
	s_wait_dscnt 0x0
	s_barrier_signal -1
	s_barrier_wait -1
	global_inv scope:SCOPE_SE
	ds_load_b32 v6, v0
	v_lshlrev_b32_e32 v4, 2, v3
                                        ; implicit-def: $vgpr18
                                        ; implicit-def: $vgpr17
                                        ; implicit-def: $vgpr19
                                        ; implicit-def: $vgpr14_vgpr15
	s_delay_alu instid0(VALU_DEP_1)
	v_sub_nc_u32_e32 v16, 0, v4
	v_cmpx_ne_u32_e32 0, v3
	s_wait_alu 0xfffe
	s_xor_b32 s1, exec_lo, s1
	s_cbranch_execz .LBB0_19
; %bb.18:
	v_mov_b32_e32 v4, 0
	s_delay_alu instid0(VALU_DEP_1) | instskip(NEXT) | instid1(VALU_DEP_1)
	v_lshlrev_b64_e32 v[13:14], 2, v[3:4]
	v_add_co_u32 v13, s0, s8, v13
	s_wait_alu 0xf1ff
	s_delay_alu instid0(VALU_DEP_2)
	v_add_co_ci_u32_e64 v14, s0, s9, v14, s0
	global_load_b32 v13, v[13:14], off offset:3008
	ds_load_b32 v14, v16 offset:3072
	s_wait_dscnt 0x0
	v_pk_add_f16 v15, v6, v14 neg_lo:[0,1] neg_hi:[0,1]
	v_pk_add_f16 v6, v14, v6
	s_delay_alu instid0(VALU_DEP_1) | instskip(SKIP_1) | instid1(VALU_DEP_2)
	v_bfi_b32 v14, 0xffff, v15, v6
	v_bfi_b32 v6, 0xffff, v6, v15
	v_pk_mul_f16 v14, v14, 0.5 op_sel_hi:[1,0]
	s_delay_alu instid0(VALU_DEP_2) | instskip(SKIP_1) | instid1(VALU_DEP_2)
	v_pk_mul_f16 v17, v6, 0.5 op_sel_hi:[1,0]
	s_wait_loadcnt 0x0
	v_pk_mul_f16 v15, v13, v14 op_sel:[1,0]
	v_pk_mul_f16 v13, v13, v14 op_sel_hi:[0,1]
	s_delay_alu instid0(VALU_DEP_3) | instskip(NEXT) | instid1(VALU_DEP_3)
	v_lshrrev_b32_e32 v14, 16, v17
	v_pk_fma_f16 v6, v6, 0.5, v15 op_sel_hi:[1,0,1]
	v_lshrrev_b32_e32 v18, 16, v15
	v_sub_f16_e32 v15, v17, v15
	v_lshrrev_b32_e32 v17, 16, v13
	s_delay_alu instid0(VALU_DEP_4) | instskip(SKIP_2) | instid1(VALU_DEP_4)
	v_pk_add_f16 v19, v6, v13 op_sel:[0,1] op_sel_hi:[1,0]
	v_pk_add_f16 v6, v6, v13 op_sel:[0,1] op_sel_hi:[1,0] neg_lo:[0,1] neg_hi:[0,1]
	v_sub_f16_e32 v14, v18, v14
	v_sub_f16_e32 v17, v15, v17
	s_delay_alu instid0(VALU_DEP_3) | instskip(NEXT) | instid1(VALU_DEP_3)
	v_bfi_b32 v18, 0xffff, v19, v6
	v_sub_f16_e32 v19, v14, v13
	v_dual_mov_b32 v15, v4 :: v_dual_mov_b32 v14, v3
                                        ; implicit-def: $vgpr6
.LBB0_19:
	s_wait_alu 0xfffe
	s_and_not1_saveexec_b32 s0, s1
	s_cbranch_execz .LBB0_21
; %bb.20:
	v_mov_b32_e32 v19, 0
	s_wait_dscnt 0x0
	v_lshrrev_b32_e32 v14, 16, v6
	s_wait_alu 0xfffe
	v_alignbit_b32 v13, s0, v6, 16
	s_delay_alu instid0(VALU_DEP_2) | instskip(SKIP_4) | instid1(VALU_DEP_2)
	v_sub_f16_e32 v17, v6, v14
	v_mov_b32_e32 v14, 0
	ds_load_u16 v4, v19 offset:1538
	v_pk_add_f16 v13, v13, v6
	v_mov_b32_e32 v15, 0
	v_pack_b32_f16 v18, v13, 0
	s_wait_dscnt 0x0
	v_xor_b32_e32 v4, 0x8000, v4
	ds_store_b16 v19, v4 offset:1538
.LBB0_21:
	s_wait_alu 0xfffe
	s_or_b32 exec_lo, exec_lo, s0
	s_wait_dscnt 0x0
	v_mov_b32_e32 v6, 0
	ds_store_b16 v16, v19 offset:3074
	v_lshlrev_b64_e32 v[4:5], 2, v[5:6]
	v_mov_b32_e32 v13, v6
	s_delay_alu instid0(VALU_DEP_2) | instskip(SKIP_1) | instid1(VALU_DEP_3)
	v_add_co_u32 v4, s0, s8, v4
	s_wait_alu 0xf1ff
	v_add_co_ci_u32_e64 v5, s0, s9, v5, s0
	global_load_b32 v20, v[4:5], off offset:3008
	v_lshlrev_b64_e32 v[4:5], 2, v[12:13]
	v_mov_b32_e32 v12, v6
	s_delay_alu instid0(VALU_DEP_2) | instskip(SKIP_1) | instid1(VALU_DEP_3)
	v_add_co_u32 v4, s0, s8, v4
	s_wait_alu 0xf1ff
	v_add_co_ci_u32_e64 v5, s0, s9, v5, s0
	global_load_b32 v13, v[4:5], off offset:3008
	;; [unrolled: 7-line block ×4, first 2 shown]
	v_lshlrev_b64_e32 v[4:5], 2, v[9:10]
	s_delay_alu instid0(VALU_DEP_1) | instskip(SKIP_1) | instid1(VALU_DEP_2)
	v_add_co_u32 v4, s0, s8, v4
	s_wait_alu 0xf1ff
	v_add_co_ci_u32_e64 v5, s0, s9, v5, s0
	s_add_nc_u64 s[0:1], s[8:9], 0xbc0
	global_load_b32 v9, v[4:5], off offset:3008
	v_lshlrev_b64_e32 v[4:5], 2, v[14:15]
	ds_store_b32 v0, v18
	ds_store_b16 v16, v17 offset:3072
	ds_load_b32 v10, v29
	ds_load_b32 v14, v16 offset:2880
	s_wait_alu 0xfffe
	v_add_co_u32 v4, s0, s0, v4
	s_wait_alu 0xf1ff
	v_add_co_ci_u32_e64 v5, s0, s1, v5, s0
	s_clause 0x1
	global_load_b32 v15, v[4:5], off offset:1152
	global_load_b32 v4, v[4:5], off offset:1344
	s_wait_dscnt 0x0
	v_pk_add_f16 v17, v10, v14 neg_lo:[0,1] neg_hi:[0,1]
	v_pk_add_f16 v10, v10, v14
	s_delay_alu instid0(VALU_DEP_1) | instskip(SKIP_1) | instid1(VALU_DEP_2)
	v_bfi_b32 v14, 0xffff, v17, v10
	v_bfi_b32 v10, 0xffff, v10, v17
	v_pk_mul_f16 v14, v14, 0.5 op_sel_hi:[1,0]
	s_delay_alu instid0(VALU_DEP_2) | instskip(SKIP_1) | instid1(VALU_DEP_1)
	v_pk_mul_f16 v10, v10, 0.5 op_sel_hi:[1,0]
	s_wait_loadcnt 0x6
	v_pk_fma_f16 v5, v20, v14, v10 op_sel:[1,0,0]
	v_pk_mul_f16 v17, v20, v14 op_sel_hi:[0,1]
	v_pk_fma_f16 v18, v20, v14, v10 op_sel:[1,0,0] neg_lo:[1,0,0] neg_hi:[1,0,0]
	v_pk_fma_f16 v10, v20, v14, v10 op_sel:[1,0,0] neg_lo:[0,0,1] neg_hi:[0,0,1]
	s_delay_alu instid0(VALU_DEP_3) | instskip(SKIP_1) | instid1(VALU_DEP_4)
	v_pk_add_f16 v14, v5, v17 op_sel:[0,1] op_sel_hi:[1,0]
	v_pk_add_f16 v5, v5, v17 op_sel:[0,1] op_sel_hi:[1,0] neg_lo:[0,1] neg_hi:[0,1]
	v_pk_add_f16 v18, v18, v17 op_sel:[0,1] op_sel_hi:[1,0] neg_lo:[0,1] neg_hi:[0,1]
	s_delay_alu instid0(VALU_DEP_4) | instskip(NEXT) | instid1(VALU_DEP_3)
	v_pk_add_f16 v10, v10, v17 op_sel:[0,1] op_sel_hi:[1,0] neg_lo:[0,1] neg_hi:[0,1]
	v_bfi_b32 v5, 0xffff, v14, v5
	s_delay_alu instid0(VALU_DEP_2)
	v_bfi_b32 v10, 0xffff, v18, v10
	ds_store_b32 v29, v5
	ds_store_b32 v16, v10 offset:2880
	ds_load_b32 v5, v28
	ds_load_b32 v10, v16 offset:2688
	s_wait_dscnt 0x0
	v_pk_add_f16 v14, v5, v10 neg_lo:[0,1] neg_hi:[0,1]
	v_pk_add_f16 v5, v5, v10
	s_delay_alu instid0(VALU_DEP_1) | instskip(SKIP_1) | instid1(VALU_DEP_2)
	v_bfi_b32 v10, 0xffff, v14, v5
	v_bfi_b32 v5, 0xffff, v5, v14
	v_pk_mul_f16 v10, v10, 0.5 op_sel_hi:[1,0]
	s_delay_alu instid0(VALU_DEP_2) | instskip(SKIP_1) | instid1(VALU_DEP_2)
	v_pk_mul_f16 v5, v5, 0.5 op_sel_hi:[1,0]
	s_wait_loadcnt 0x5
	v_pk_mul_f16 v17, v13, v10 op_sel_hi:[0,1]
	s_delay_alu instid0(VALU_DEP_2) | instskip(SKIP_2) | instid1(VALU_DEP_3)
	v_pk_fma_f16 v14, v13, v10, v5 op_sel:[1,0,0]
	v_pk_fma_f16 v18, v13, v10, v5 op_sel:[1,0,0] neg_lo:[1,0,0] neg_hi:[1,0,0]
	v_pk_fma_f16 v5, v13, v10, v5 op_sel:[1,0,0] neg_lo:[0,0,1] neg_hi:[0,0,1]
	v_pk_add_f16 v10, v14, v17 op_sel:[0,1] op_sel_hi:[1,0]
	v_pk_add_f16 v13, v14, v17 op_sel:[0,1] op_sel_hi:[1,0] neg_lo:[0,1] neg_hi:[0,1]
	s_delay_alu instid0(VALU_DEP_4) | instskip(NEXT) | instid1(VALU_DEP_4)
	v_pk_add_f16 v14, v18, v17 op_sel:[0,1] op_sel_hi:[1,0] neg_lo:[0,1] neg_hi:[0,1]
	v_pk_add_f16 v5, v5, v17 op_sel:[0,1] op_sel_hi:[1,0] neg_lo:[0,1] neg_hi:[0,1]
	s_delay_alu instid0(VALU_DEP_3) | instskip(NEXT) | instid1(VALU_DEP_2)
	v_bfi_b32 v10, 0xffff, v10, v13
	v_bfi_b32 v5, 0xffff, v14, v5
	ds_store_b32 v28, v10
	ds_store_b32 v16, v5 offset:2688
	ds_load_b32 v5, v27
	ds_load_b32 v10, v16 offset:2496
	s_wait_dscnt 0x0
	v_pk_add_f16 v13, v5, v10 neg_lo:[0,1] neg_hi:[0,1]
	v_pk_add_f16 v5, v5, v10
	s_delay_alu instid0(VALU_DEP_1) | instskip(SKIP_1) | instid1(VALU_DEP_2)
	v_bfi_b32 v10, 0xffff, v13, v5
	v_bfi_b32 v5, 0xffff, v5, v13
	v_pk_mul_f16 v10, v10, 0.5 op_sel_hi:[1,0]
	s_delay_alu instid0(VALU_DEP_2) | instskip(SKIP_1) | instid1(VALU_DEP_2)
	v_pk_mul_f16 v5, v5, 0.5 op_sel_hi:[1,0]
	s_wait_loadcnt 0x4
	v_pk_mul_f16 v14, v12, v10 op_sel_hi:[0,1]
	s_delay_alu instid0(VALU_DEP_2) | instskip(SKIP_2) | instid1(VALU_DEP_3)
	v_pk_fma_f16 v13, v12, v10, v5 op_sel:[1,0,0]
	v_pk_fma_f16 v17, v12, v10, v5 op_sel:[1,0,0] neg_lo:[1,0,0] neg_hi:[1,0,0]
	v_pk_fma_f16 v5, v12, v10, v5 op_sel:[1,0,0] neg_lo:[0,0,1] neg_hi:[0,0,1]
	v_pk_add_f16 v10, v13, v14 op_sel:[0,1] op_sel_hi:[1,0]
	v_pk_add_f16 v12, v13, v14 op_sel:[0,1] op_sel_hi:[1,0] neg_lo:[0,1] neg_hi:[0,1]
	s_delay_alu instid0(VALU_DEP_4) | instskip(NEXT) | instid1(VALU_DEP_4)
	v_pk_add_f16 v13, v17, v14 op_sel:[0,1] op_sel_hi:[1,0] neg_lo:[0,1] neg_hi:[0,1]
	v_pk_add_f16 v5, v5, v14 op_sel:[0,1] op_sel_hi:[1,0] neg_lo:[0,1] neg_hi:[0,1]
	s_delay_alu instid0(VALU_DEP_3) | instskip(NEXT) | instid1(VALU_DEP_2)
	v_bfi_b32 v10, 0xffff, v10, v12
	v_bfi_b32 v5, 0xffff, v13, v5
	ds_store_b32 v27, v10
	ds_store_b32 v16, v5 offset:2496
	ds_load_b32 v5, v26
	ds_load_b32 v10, v16 offset:2304
	s_wait_dscnt 0x0
	v_pk_add_f16 v12, v5, v10 neg_lo:[0,1] neg_hi:[0,1]
	v_pk_add_f16 v5, v5, v10
	s_delay_alu instid0(VALU_DEP_1) | instskip(SKIP_1) | instid1(VALU_DEP_2)
	v_bfi_b32 v10, 0xffff, v12, v5
	v_bfi_b32 v5, 0xffff, v5, v12
	v_pk_mul_f16 v10, v10, 0.5 op_sel_hi:[1,0]
	s_delay_alu instid0(VALU_DEP_2) | instskip(SKIP_1) | instid1(VALU_DEP_2)
	v_pk_mul_f16 v12, v5, 0.5 op_sel_hi:[1,0]
	s_wait_loadcnt 0x3
	v_pk_mul_f16 v13, v11, v10 op_sel:[1,0]
	v_pk_mul_f16 v10, v11, v10 op_sel_hi:[0,1]
	s_delay_alu instid0(VALU_DEP_3) | instskip(NEXT) | instid1(VALU_DEP_3)
	v_lshrrev_b32_e32 v11, 16, v12
	v_lshrrev_b32_e32 v14, 16, v13
	v_pk_fma_f16 v5, v5, 0.5, v13 op_sel_hi:[1,0,1]
	v_sub_f16_e32 v12, v12, v13
	s_delay_alu instid0(VALU_DEP_3) | instskip(NEXT) | instid1(VALU_DEP_3)
	v_sub_f16_e32 v11, v14, v11
	v_pk_add_f16 v13, v5, v10 op_sel:[0,1] op_sel_hi:[1,0]
	v_pk_add_f16 v5, v5, v10 op_sel:[0,1] op_sel_hi:[1,0] neg_lo:[0,1] neg_hi:[0,1]
	v_lshrrev_b32_e32 v14, 16, v10
	s_delay_alu instid0(VALU_DEP_4) | instskip(NEXT) | instid1(VALU_DEP_3)
	v_sub_f16_e32 v10, v11, v10
	v_bfi_b32 v5, 0xffff, v13, v5
	s_delay_alu instid0(VALU_DEP_3)
	v_sub_f16_e32 v11, v12, v14
	ds_store_b16 v16, v10 offset:2306
	ds_store_b32 v26, v5
	ds_store_b16 v16, v11 offset:2304
	ds_load_b32 v5, v25
	ds_load_b32 v10, v16 offset:2112
	s_wait_dscnt 0x0
	v_pk_add_f16 v11, v5, v10 neg_lo:[0,1] neg_hi:[0,1]
	v_pk_add_f16 v5, v5, v10
	s_delay_alu instid0(VALU_DEP_1) | instskip(SKIP_1) | instid1(VALU_DEP_2)
	v_bfi_b32 v10, 0xffff, v11, v5
	v_bfi_b32 v5, 0xffff, v5, v11
	v_pk_mul_f16 v10, v10, 0.5 op_sel_hi:[1,0]
	s_delay_alu instid0(VALU_DEP_2) | instskip(SKIP_1) | instid1(VALU_DEP_2)
	v_pk_mul_f16 v5, v5, 0.5 op_sel_hi:[1,0]
	s_wait_loadcnt 0x2
	v_pk_mul_f16 v12, v9, v10 op_sel_hi:[0,1]
	s_delay_alu instid0(VALU_DEP_2) | instskip(SKIP_2) | instid1(VALU_DEP_3)
	v_pk_fma_f16 v11, v9, v10, v5 op_sel:[1,0,0]
	v_pk_fma_f16 v13, v9, v10, v5 op_sel:[1,0,0] neg_lo:[1,0,0] neg_hi:[1,0,0]
	v_pk_fma_f16 v5, v9, v10, v5 op_sel:[1,0,0] neg_lo:[0,0,1] neg_hi:[0,0,1]
	v_pk_add_f16 v9, v11, v12 op_sel:[0,1] op_sel_hi:[1,0]
	v_pk_add_f16 v10, v11, v12 op_sel:[0,1] op_sel_hi:[1,0] neg_lo:[0,1] neg_hi:[0,1]
	s_delay_alu instid0(VALU_DEP_4) | instskip(NEXT) | instid1(VALU_DEP_4)
	v_pk_add_f16 v11, v13, v12 op_sel:[0,1] op_sel_hi:[1,0] neg_lo:[0,1] neg_hi:[0,1]
	v_pk_add_f16 v5, v5, v12 op_sel:[0,1] op_sel_hi:[1,0] neg_lo:[0,1] neg_hi:[0,1]
	s_delay_alu instid0(VALU_DEP_3) | instskip(NEXT) | instid1(VALU_DEP_2)
	v_bfi_b32 v9, 0xffff, v9, v10
	v_bfi_b32 v5, 0xffff, v11, v5
	ds_store_b32 v25, v9
	ds_store_b32 v16, v5 offset:2112
	ds_load_b32 v5, v0 offset:1152
	ds_load_b32 v9, v16 offset:1920
	s_wait_dscnt 0x0
	v_pk_add_f16 v10, v5, v9 neg_lo:[0,1] neg_hi:[0,1]
	v_pk_add_f16 v5, v5, v9
	s_delay_alu instid0(VALU_DEP_1) | instskip(SKIP_1) | instid1(VALU_DEP_2)
	v_bfi_b32 v9, 0xffff, v10, v5
	v_bfi_b32 v5, 0xffff, v5, v10
	v_pk_mul_f16 v9, v9, 0.5 op_sel_hi:[1,0]
	s_delay_alu instid0(VALU_DEP_2) | instskip(SKIP_1) | instid1(VALU_DEP_2)
	v_pk_mul_f16 v10, v5, 0.5 op_sel_hi:[1,0]
	s_wait_loadcnt 0x1
	v_pk_mul_f16 v11, v15, v9 op_sel:[1,0]
	s_delay_alu instid0(VALU_DEP_2) | instskip(SKIP_1) | instid1(VALU_DEP_3)
	v_lshrrev_b32_e32 v12, 16, v10
	v_pk_mul_f16 v9, v15, v9 op_sel_hi:[0,1]
	v_lshrrev_b32_e32 v13, 16, v11
	v_pk_fma_f16 v5, v5, 0.5, v11 op_sel_hi:[1,0,1]
	v_sub_f16_e32 v10, v10, v11
	s_delay_alu instid0(VALU_DEP_3) | instskip(NEXT) | instid1(VALU_DEP_3)
	v_sub_f16_e32 v12, v13, v12
	v_pk_add_f16 v11, v5, v9 op_sel:[0,1] op_sel_hi:[1,0]
	v_pk_add_f16 v5, v5, v9 op_sel:[0,1] op_sel_hi:[1,0] neg_lo:[0,1] neg_hi:[0,1]
	v_lshrrev_b32_e32 v13, 16, v9
	s_delay_alu instid0(VALU_DEP_4) | instskip(NEXT) | instid1(VALU_DEP_3)
	v_sub_f16_e32 v9, v12, v9
	v_bfi_b32 v5, 0xffff, v11, v5
	s_delay_alu instid0(VALU_DEP_3)
	v_sub_f16_e32 v10, v10, v13
	ds_store_b16 v16, v9 offset:1922
	ds_store_b32 v0, v5 offset:1152
	ds_store_b16 v16, v10 offset:1920
	ds_load_b32 v5, v0 offset:1344
	ds_load_b32 v9, v16 offset:1728
	s_wait_dscnt 0x0
	v_pk_add_f16 v10, v5, v9 neg_lo:[0,1] neg_hi:[0,1]
	v_pk_add_f16 v5, v5, v9
	s_delay_alu instid0(VALU_DEP_1) | instskip(SKIP_1) | instid1(VALU_DEP_2)
	v_bfi_b32 v9, 0xffff, v10, v5
	v_bfi_b32 v5, 0xffff, v5, v10
	v_pk_mul_f16 v9, v9, 0.5 op_sel_hi:[1,0]
	s_delay_alu instid0(VALU_DEP_2) | instskip(SKIP_1) | instid1(VALU_DEP_2)
	v_pk_mul_f16 v5, v5, 0.5 op_sel_hi:[1,0]
	s_wait_loadcnt 0x0
	v_pk_mul_f16 v11, v4, v9 op_sel_hi:[0,1]
	s_delay_alu instid0(VALU_DEP_2) | instskip(SKIP_2) | instid1(VALU_DEP_3)
	v_pk_fma_f16 v10, v4, v9, v5 op_sel:[1,0,0]
	v_pk_fma_f16 v12, v4, v9, v5 op_sel:[1,0,0] neg_lo:[1,0,0] neg_hi:[1,0,0]
	v_pk_fma_f16 v4, v4, v9, v5 op_sel:[1,0,0] neg_lo:[0,0,1] neg_hi:[0,0,1]
	v_pk_add_f16 v5, v10, v11 op_sel:[0,1] op_sel_hi:[1,0]
	v_pk_add_f16 v9, v10, v11 op_sel:[0,1] op_sel_hi:[1,0] neg_lo:[0,1] neg_hi:[0,1]
	s_delay_alu instid0(VALU_DEP_4) | instskip(NEXT) | instid1(VALU_DEP_4)
	v_pk_add_f16 v10, v12, v11 op_sel:[0,1] op_sel_hi:[1,0] neg_lo:[0,1] neg_hi:[0,1]
	v_pk_add_f16 v4, v4, v11 op_sel:[0,1] op_sel_hi:[1,0] neg_lo:[0,1] neg_hi:[0,1]
	s_delay_alu instid0(VALU_DEP_3) | instskip(NEXT) | instid1(VALU_DEP_2)
	v_bfi_b32 v5, 0xffff, v5, v9
	v_bfi_b32 v4, 0xffff, v10, v4
	ds_store_b32 v0, v5 offset:1344
	ds_store_b32 v16, v4 offset:1728
	global_wb scope:SCOPE_SE
	s_wait_dscnt 0x0
	s_barrier_signal -1
	s_barrier_wait -1
	global_inv scope:SCOPE_SE
	s_and_saveexec_b32 s0, vcc_lo
	s_cbranch_execz .LBB0_24
; %bb.22:
	v_mul_lo_u32 v0, s3, v7
	v_mul_lo_u32 v4, s2, v8
	v_mad_co_u64_u32 v[7:8], null, s2, v7, 0
	v_lshl_add_u32 v33, v3, 2, 0
	v_add_nc_u32_e32 v5, 48, v3
	ds_load_2addr_b32 v[9:10], v33 offset1:48
	v_add3_u32 v8, v8, v4, v0
	v_mov_b32_e32 v4, v6
	v_lshlrev_b64_e32 v[0:1], 2, v[1:2]
	v_lshlrev_b64_e32 v[13:14], 2, v[5:6]
	v_add_nc_u32_e32 v5, 0x60, v3
	v_lshlrev_b64_e32 v[7:8], 2, v[7:8]
	v_lshlrev_b64_e32 v[11:12], 2, v[3:4]
	ds_load_2addr_b32 v[15:16], v33 offset0:96 offset1:144
	ds_load_2addr_b32 v[21:22], v33 offset0:192 offset1:240
	v_add_co_u32 v2, vcc_lo, s6, v7
	s_wait_alu 0xfffd
	v_add_co_ci_u32_e32 v4, vcc_lo, s7, v8, vcc_lo
	v_lshlrev_b64_e32 v[7:8], 2, v[5:6]
	v_add_nc_u32_e32 v5, 0x90, v3
	v_add_co_u32 v0, vcc_lo, v2, v0
	s_wait_alu 0xfffd
	v_add_co_ci_u32_e32 v1, vcc_lo, v4, v1, vcc_lo
	s_delay_alu instid0(VALU_DEP_3) | instskip(SKIP_4) | instid1(VALU_DEP_3)
	v_lshlrev_b64_e32 v[17:18], 2, v[5:6]
	v_add_nc_u32_e32 v5, 0xc0, v3
	v_add_co_u32 v11, vcc_lo, v0, v11
	s_wait_alu 0xfffd
	v_add_co_ci_u32_e32 v12, vcc_lo, v1, v12, vcc_lo
	v_lshlrev_b64_e32 v[19:20], 2, v[5:6]
	v_add_nc_u32_e32 v5, 0xf0, v3
	v_add_co_u32 v13, vcc_lo, v0, v13
	v_add_nc_u32_e32 v2, 0x400, v33
	s_wait_alu 0xfffd
	v_add_co_ci_u32_e32 v14, vcc_lo, v1, v14, vcc_lo
	v_lshlrev_b64_e32 v[23:24], 2, v[5:6]
	v_add_nc_u32_e32 v5, 0x120, v3
	v_add_co_u32 v7, vcc_lo, v0, v7
	s_wait_alu 0xfffd
	v_add_co_ci_u32_e32 v8, vcc_lo, v1, v8, vcc_lo
	s_delay_alu instid0(VALU_DEP_3)
	v_lshlrev_b64_e32 v[27:28], 2, v[5:6]
	v_add_nc_u32_e32 v5, 0x150, v3
	v_add_co_u32 v17, vcc_lo, v0, v17
	ds_load_2addr_b32 v[25:26], v2 offset0:32 offset1:80
	s_wait_alu 0xfffd
	v_add_co_ci_u32_e32 v18, vcc_lo, v1, v18, vcc_lo
	v_add_co_u32 v19, vcc_lo, v0, v19
	v_lshlrev_b64_e32 v[29:30], 2, v[5:6]
	v_add_nc_u32_e32 v5, 0x180, v3
	s_wait_alu 0xfffd
	v_add_co_ci_u32_e32 v20, vcc_lo, v1, v20, vcc_lo
	v_add_co_u32 v23, vcc_lo, v0, v23
	s_wait_alu 0xfffd
	v_add_co_ci_u32_e32 v24, vcc_lo, v1, v24, vcc_lo
	v_add_co_u32 v27, vcc_lo, v0, v27
	v_lshlrev_b64_e32 v[31:32], 2, v[5:6]
	v_add_nc_u32_e32 v5, 0x1b0, v3
	s_wait_alu 0xfffd
	v_add_co_ci_u32_e32 v28, vcc_lo, v1, v28, vcc_lo
	v_add_co_u32 v29, vcc_lo, v0, v29
	s_wait_alu 0xfffd
	v_add_co_ci_u32_e32 v30, vcc_lo, v1, v30, vcc_lo
	s_wait_dscnt 0x3
	s_clause 0x1
	global_store_b32 v[11:12], v9, off
	global_store_b32 v[13:14], v10, off
	s_wait_dscnt 0x2
	s_clause 0x1
	global_store_b32 v[7:8], v15, off
	global_store_b32 v[17:18], v16, off
	;; [unrolled: 4-line block ×4, first 2 shown]
	v_lshlrev_b64_e32 v[9:10], 2, v[5:6]
	v_add_nc_u32_e32 v5, 0x1e0, v3
	v_add_co_u32 v11, vcc_lo, v0, v31
	s_wait_alu 0xfffd
	v_add_co_ci_u32_e32 v12, vcc_lo, v1, v32, vcc_lo
	s_delay_alu instid0(VALU_DEP_3)
	v_lshlrev_b64_e32 v[13:14], 2, v[5:6]
	v_add_nc_u32_e32 v5, 0x210, v3
	ds_load_2addr_b32 v[7:8], v2 offset0:128 offset1:176
	v_add_nc_u32_e32 v2, 0x600, v33
	v_add_co_u32 v9, vcc_lo, v0, v9
	v_lshlrev_b64_e32 v[17:18], 2, v[5:6]
	v_add_nc_u32_e32 v5, 0x240, v3
	s_wait_alu 0xfffd
	v_add_co_ci_u32_e32 v10, vcc_lo, v1, v10, vcc_lo
	v_add_co_u32 v13, vcc_lo, v0, v13
	s_delay_alu instid0(VALU_DEP_3)
	v_lshlrev_b64_e32 v[19:20], 2, v[5:6]
	v_add_nc_u32_e32 v5, 0x270, v3
	ds_load_2addr_b32 v[15:16], v2 offset0:96 offset1:144
	s_wait_alu 0xfffd
	v_add_co_ci_u32_e32 v14, vcc_lo, v1, v14, vcc_lo
	v_add_nc_u32_e32 v2, 0x800, v33
	v_lshlrev_b64_e32 v[23:24], 2, v[5:6]
	v_add_nc_u32_e32 v5, 0x2a0, v3
	v_add_co_u32 v17, vcc_lo, v0, v17
	s_wait_alu 0xfffd
	v_add_co_ci_u32_e32 v18, vcc_lo, v1, v18, vcc_lo
	s_delay_alu instid0(VALU_DEP_3)
	v_lshlrev_b64_e32 v[27:28], 2, v[5:6]
	v_add_nc_u32_e32 v5, 0x2d0, v3
	v_add_co_u32 v19, vcc_lo, v0, v19
	ds_load_2addr_b32 v[21:22], v2 offset0:64 offset1:112
	s_wait_alu 0xfffd
	v_add_co_ci_u32_e32 v20, vcc_lo, v1, v20, vcc_lo
	ds_load_2addr_b32 v[25:26], v2 offset0:160 offset1:208
	v_add_co_u32 v23, vcc_lo, v0, v23
	v_lshlrev_b64_e32 v[4:5], 2, v[5:6]
	s_wait_alu 0xfffd
	v_add_co_ci_u32_e32 v24, vcc_lo, v1, v24, vcc_lo
	v_add_co_u32 v27, vcc_lo, v0, v27
	s_wait_alu 0xfffd
	v_add_co_ci_u32_e32 v28, vcc_lo, v1, v28, vcc_lo
	v_add_co_u32 v4, vcc_lo, v0, v4
	s_wait_alu 0xfffd
	v_add_co_ci_u32_e32 v5, vcc_lo, v1, v5, vcc_lo
	v_cmp_eq_u32_e32 vcc_lo, 47, v3
	s_wait_dscnt 0x3
	s_clause 0x1
	global_store_b32 v[11:12], v7, off
	global_store_b32 v[9:10], v8, off
	s_wait_dscnt 0x2
	s_clause 0x1
	global_store_b32 v[13:14], v15, off
	global_store_b32 v[17:18], v16, off
	;; [unrolled: 4-line block ×4, first 2 shown]
	s_and_b32 exec_lo, exec_lo, vcc_lo
	s_cbranch_execz .LBB0_24
; %bb.23:
	v_mov_b32_e32 v2, 0
	ds_load_b32 v2, v2 offset:3072
	s_wait_dscnt 0x0
	global_store_b32 v[0:1], v2, off offset:3072
.LBB0_24:
	s_nop 0
	s_sendmsg sendmsg(MSG_DEALLOC_VGPRS)
	s_endpgm
	.section	.rodata,"a",@progbits
	.p2align	6, 0x0
	.amdhsa_kernel fft_rtc_fwd_len768_factors_16_3_16_wgs_48_tpt_48_halfLds_half_op_CI_CI_unitstride_sbrr_R2C_dirReg
		.amdhsa_group_segment_fixed_size 0
		.amdhsa_private_segment_fixed_size 0
		.amdhsa_kernarg_size 104
		.amdhsa_user_sgpr_count 2
		.amdhsa_user_sgpr_dispatch_ptr 0
		.amdhsa_user_sgpr_queue_ptr 0
		.amdhsa_user_sgpr_kernarg_segment_ptr 1
		.amdhsa_user_sgpr_dispatch_id 0
		.amdhsa_user_sgpr_private_segment_size 0
		.amdhsa_wavefront_size32 1
		.amdhsa_uses_dynamic_stack 0
		.amdhsa_enable_private_segment 0
		.amdhsa_system_sgpr_workgroup_id_x 1
		.amdhsa_system_sgpr_workgroup_id_y 0
		.amdhsa_system_sgpr_workgroup_id_z 0
		.amdhsa_system_sgpr_workgroup_info 0
		.amdhsa_system_vgpr_workitem_id 0
		.amdhsa_next_free_vgpr 96
		.amdhsa_next_free_sgpr 39
		.amdhsa_reserve_vcc 1
		.amdhsa_float_round_mode_32 0
		.amdhsa_float_round_mode_16_64 0
		.amdhsa_float_denorm_mode_32 3
		.amdhsa_float_denorm_mode_16_64 3
		.amdhsa_fp16_overflow 0
		.amdhsa_workgroup_processor_mode 1
		.amdhsa_memory_ordered 1
		.amdhsa_forward_progress 0
		.amdhsa_round_robin_scheduling 0
		.amdhsa_exception_fp_ieee_invalid_op 0
		.amdhsa_exception_fp_denorm_src 0
		.amdhsa_exception_fp_ieee_div_zero 0
		.amdhsa_exception_fp_ieee_overflow 0
		.amdhsa_exception_fp_ieee_underflow 0
		.amdhsa_exception_fp_ieee_inexact 0
		.amdhsa_exception_int_div_zero 0
	.end_amdhsa_kernel
	.text
.Lfunc_end0:
	.size	fft_rtc_fwd_len768_factors_16_3_16_wgs_48_tpt_48_halfLds_half_op_CI_CI_unitstride_sbrr_R2C_dirReg, .Lfunc_end0-fft_rtc_fwd_len768_factors_16_3_16_wgs_48_tpt_48_halfLds_half_op_CI_CI_unitstride_sbrr_R2C_dirReg
                                        ; -- End function
	.section	.AMDGPU.csdata,"",@progbits
; Kernel info:
; codeLenInByte = 9784
; NumSgprs: 41
; NumVgprs: 96
; ScratchSize: 0
; MemoryBound: 0
; FloatMode: 240
; IeeeMode: 1
; LDSByteSize: 0 bytes/workgroup (compile time only)
; SGPRBlocks: 5
; VGPRBlocks: 11
; NumSGPRsForWavesPerEU: 41
; NumVGPRsForWavesPerEU: 96
; Occupancy: 16
; WaveLimiterHint : 1
; COMPUTE_PGM_RSRC2:SCRATCH_EN: 0
; COMPUTE_PGM_RSRC2:USER_SGPR: 2
; COMPUTE_PGM_RSRC2:TRAP_HANDLER: 0
; COMPUTE_PGM_RSRC2:TGID_X_EN: 1
; COMPUTE_PGM_RSRC2:TGID_Y_EN: 0
; COMPUTE_PGM_RSRC2:TGID_Z_EN: 0
; COMPUTE_PGM_RSRC2:TIDIG_COMP_CNT: 0
	.text
	.p2alignl 7, 3214868480
	.fill 96, 4, 3214868480
	.type	__hip_cuid_5477035c90a84d1c,@object ; @__hip_cuid_5477035c90a84d1c
	.section	.bss,"aw",@nobits
	.globl	__hip_cuid_5477035c90a84d1c
__hip_cuid_5477035c90a84d1c:
	.byte	0                               ; 0x0
	.size	__hip_cuid_5477035c90a84d1c, 1

	.ident	"AMD clang version 19.0.0git (https://github.com/RadeonOpenCompute/llvm-project roc-6.4.0 25133 c7fe45cf4b819c5991fe208aaa96edf142730f1d)"
	.section	".note.GNU-stack","",@progbits
	.addrsig
	.addrsig_sym __hip_cuid_5477035c90a84d1c
	.amdgpu_metadata
---
amdhsa.kernels:
  - .args:
      - .actual_access:  read_only
        .address_space:  global
        .offset:         0
        .size:           8
        .value_kind:     global_buffer
      - .offset:         8
        .size:           8
        .value_kind:     by_value
      - .actual_access:  read_only
        .address_space:  global
        .offset:         16
        .size:           8
        .value_kind:     global_buffer
      - .actual_access:  read_only
        .address_space:  global
        .offset:         24
        .size:           8
        .value_kind:     global_buffer
      - .actual_access:  read_only
        .address_space:  global
        .offset:         32
        .size:           8
        .value_kind:     global_buffer
      - .offset:         40
        .size:           8
        .value_kind:     by_value
      - .actual_access:  read_only
        .address_space:  global
        .offset:         48
        .size:           8
        .value_kind:     global_buffer
      - .actual_access:  read_only
        .address_space:  global
        .offset:         56
        .size:           8
        .value_kind:     global_buffer
      - .offset:         64
        .size:           4
        .value_kind:     by_value
      - .actual_access:  read_only
        .address_space:  global
        .offset:         72
        .size:           8
        .value_kind:     global_buffer
      - .actual_access:  read_only
        .address_space:  global
        .offset:         80
        .size:           8
        .value_kind:     global_buffer
      - .actual_access:  read_only
        .address_space:  global
        .offset:         88
        .size:           8
        .value_kind:     global_buffer
      - .actual_access:  write_only
        .address_space:  global
        .offset:         96
        .size:           8
        .value_kind:     global_buffer
    .group_segment_fixed_size: 0
    .kernarg_segment_align: 8
    .kernarg_segment_size: 104
    .language:       OpenCL C
    .language_version:
      - 2
      - 0
    .max_flat_workgroup_size: 48
    .name:           fft_rtc_fwd_len768_factors_16_3_16_wgs_48_tpt_48_halfLds_half_op_CI_CI_unitstride_sbrr_R2C_dirReg
    .private_segment_fixed_size: 0
    .sgpr_count:     41
    .sgpr_spill_count: 0
    .symbol:         fft_rtc_fwd_len768_factors_16_3_16_wgs_48_tpt_48_halfLds_half_op_CI_CI_unitstride_sbrr_R2C_dirReg.kd
    .uniform_work_group_size: 1
    .uses_dynamic_stack: false
    .vgpr_count:     96
    .vgpr_spill_count: 0
    .wavefront_size: 32
    .workgroup_processor_mode: 1
amdhsa.target:   amdgcn-amd-amdhsa--gfx1201
amdhsa.version:
  - 1
  - 2
...

	.end_amdgpu_metadata
